;; amdgpu-corpus repo=ROCm/rocFFT kind=compiled arch=gfx906 opt=O3
	.text
	.amdgcn_target "amdgcn-amd-amdhsa--gfx906"
	.amdhsa_code_object_version 6
	.protected	fft_rtc_fwd_len208_factors_13_16_wgs_144_tpt_16_sp_op_CI_CI_sbcc_twdbase6_3step ; -- Begin function fft_rtc_fwd_len208_factors_13_16_wgs_144_tpt_16_sp_op_CI_CI_sbcc_twdbase6_3step
	.globl	fft_rtc_fwd_len208_factors_13_16_wgs_144_tpt_16_sp_op_CI_CI_sbcc_twdbase6_3step
	.p2align	8
	.type	fft_rtc_fwd_len208_factors_13_16_wgs_144_tpt_16_sp_op_CI_CI_sbcc_twdbase6_3step,@function
fft_rtc_fwd_len208_factors_13_16_wgs_144_tpt_16_sp_op_CI_CI_sbcc_twdbase6_3step: ; @fft_rtc_fwd_len208_factors_13_16_wgs_144_tpt_16_sp_op_CI_CI_sbcc_twdbase6_3step
; %bb.0:
	s_load_dwordx2 s[28:29], s[4:5], 0x0
	s_load_dwordx8 s[8:15], s[4:5], 0x8
	s_load_dwordx4 s[16:19], s[4:5], 0x60
	s_load_dwordx2 s[30:31], s[4:5], 0x28
	s_movk_i32 s0, 0xc0
	v_cmp_gt_u32_e32 vcc, s0, v0
	s_and_saveexec_b64 s[2:3], vcc
	s_cbranch_execz .LBB0_3
; %bb.1:
	v_add_co_u32_e32 v1, vcc, 0xffffff70, v0
	v_lshlrev_b32_e32 v5, 3, v0
	v_addc_co_u32_e64 v2, s[0:1], 0, -1, vcc
	s_waitcnt lgkmcnt(0)
	v_mov_b32_e32 v4, s9
	v_add_co_u32_e32 v3, vcc, s8, v5
	v_add_u32_e32 v5, 0, v5
	v_addc_co_u32_e32 v4, vcc, 0, v4, vcc
	v_add_u32_e32 v5, 0x3a80, v5
	s_mov_b64 s[4:5], 0
.LBB0_2:                                ; =>This Inner Loop Header: Depth=1
	global_load_dwordx2 v[6:7], v[3:4], off
	v_add_co_u32_e32 v1, vcc, 0x90, v1
	v_addc_co_u32_e32 v2, vcc, 0, v2, vcc
	v_cmp_lt_u64_e64 s[0:1], 47, v[1:2]
	v_add_co_u32_e32 v3, vcc, 0x480, v3
	v_addc_co_u32_e32 v4, vcc, 0, v4, vcc
	s_or_b64 s[4:5], s[0:1], s[4:5]
	s_waitcnt vmcnt(0)
	ds_write_b64 v5, v[6:7]
	v_add_u32_e32 v5, 0x480, v5
	s_andn2_b64 exec, exec, s[4:5]
	s_cbranch_execnz .LBB0_2
.LBB0_3:
	s_or_b64 exec, exec, s[2:3]
	s_waitcnt lgkmcnt(0)
	s_load_dwordx2 s[8:9], s[12:13], 0x8
	s_mov_b32 s7, 0
	s_waitcnt lgkmcnt(0)
	s_add_u32 s0, s8, -1
	s_addc_u32 s1, s9, -1
	s_add_u32 s2, 0, 0x71c4fc00
	s_addc_u32 s3, 0, 0x7c
	s_mul_hi_u32 s5, s2, -9
	s_add_i32 s3, s3, 0x1c71c6a0
	s_sub_i32 s5, s5, s2
	s_mul_i32 s22, s3, -9
	s_mul_i32 s4, s2, -9
	s_add_i32 s5, s5, s22
	s_mul_hi_u32 s20, s3, s4
	s_mul_i32 s21, s3, s4
	s_mul_i32 s23, s2, s5
	s_mul_hi_u32 s4, s2, s4
	s_mul_hi_u32 s22, s2, s5
	s_add_u32 s4, s4, s23
	s_addc_u32 s22, 0, s22
	s_add_u32 s4, s4, s21
	s_mul_hi_u32 s23, s3, s5
	s_addc_u32 s4, s22, s20
	s_addc_u32 s20, s23, 0
	s_mul_i32 s5, s3, s5
	s_add_u32 s4, s4, s5
	v_mov_b32_e32 v1, s4
	s_addc_u32 s5, 0, s20
	v_add_co_u32_e32 v1, vcc, s2, v1
	s_cmp_lg_u64 vcc, 0
	s_addc_u32 s2, s3, s5
	v_readfirstlane_b32 s5, v1
	s_mul_i32 s4, s0, s2
	s_mul_hi_u32 s20, s0, s5
	s_mul_hi_u32 s3, s0, s2
	s_add_u32 s4, s20, s4
	s_addc_u32 s3, 0, s3
	s_mul_hi_u32 s21, s1, s5
	s_mul_i32 s5, s1, s5
	s_add_u32 s4, s4, s5
	s_mul_hi_u32 s20, s1, s2
	s_addc_u32 s3, s3, s21
	s_addc_u32 s4, s20, 0
	s_mul_i32 s2, s1, s2
	s_add_u32 s2, s3, s2
	s_addc_u32 s3, 0, s4
	s_add_u32 s4, s2, 1
	s_addc_u32 s5, s3, 0
	s_add_u32 s20, s2, 2
	s_mul_i32 s22, s3, 9
	s_mul_hi_u32 s23, s2, 9
	s_addc_u32 s21, s3, 0
	s_add_i32 s23, s23, s22
	s_mul_i32 s22, s2, 9
	v_mov_b32_e32 v1, s22
	v_sub_co_u32_e32 v1, vcc, s0, v1
	s_cmp_lg_u64 vcc, 0
	s_subb_u32 s0, s1, s23
	v_subrev_co_u32_e32 v2, vcc, 9, v1
	s_cmp_lg_u64 vcc, 0
	s_subb_u32 s1, s0, 0
	v_readfirstlane_b32 s22, v2
	s_cmp_gt_u32 s22, 8
	s_cselect_b32 s22, -1, 0
	s_cmp_eq_u32 s1, 0
	s_cselect_b32 s1, s22, -1
	s_cmp_lg_u32 s1, 0
	s_cselect_b32 s1, s20, s4
	s_cselect_b32 s4, s21, s5
	v_readfirstlane_b32 s5, v1
	s_cmp_gt_u32 s5, 8
	s_cselect_b32 s5, -1, 0
	s_cmp_eq_u32 s0, 0
	s_cselect_b32 s0, s5, -1
	s_cmp_lg_u32 s0, 0
	s_cselect_b32 s1, s1, s2
	s_cselect_b32 s0, s4, s3
	s_add_u32 s36, s1, 1
	s_addc_u32 s37, s0, 0
	v_mov_b32_e32 v1, s36
	v_mov_b32_e32 v2, s37
	v_cmp_lt_u64_e32 vcc, s[6:7], v[1:2]
	s_mov_b64 s[4:5], 0
	s_cbranch_vccnz .LBB0_5
; %bb.4:
	v_cvt_f32_u32_e32 v1, s36
	s_sub_i32 s0, 0, s36
	s_mov_b32 s5, s7
	v_rcp_iflag_f32_e32 v1, v1
	v_mul_f32_e32 v1, 0x4f7ffffe, v1
	v_cvt_u32_f32_e32 v1, v1
	v_readfirstlane_b32 s1, v1
	s_mul_i32 s0, s0, s1
	s_mul_hi_u32 s0, s1, s0
	s_add_i32 s1, s1, s0
	s_mul_hi_u32 s0, s6, s1
	s_mul_i32 s2, s0, s36
	s_sub_i32 s2, s6, s2
	s_add_i32 s1, s0, 1
	s_sub_i32 s3, s2, s36
	s_cmp_ge_u32 s2, s36
	s_cselect_b32 s0, s1, s0
	s_cselect_b32 s2, s3, s2
	s_add_i32 s1, s0, 1
	s_cmp_ge_u32 s2, s36
	s_cselect_b32 s4, s1, s0
.LBB0_5:
	s_mul_i32 s0, s4, s37
	s_mul_hi_u32 s1, s4, s36
	s_add_i32 s1, s1, s0
	s_mul_i32 s0, s4, s36
	s_load_dwordx4 s[24:27], s[14:15], 0x0
	s_load_dwordx4 s[20:23], s[30:31], 0x0
	s_sub_u32 s50, s6, s0
	s_subb_u32 s0, 0, s1
	s_mul_i32 s0, s0, 9
	s_mul_hi_u32 s33, s50, 9
	s_add_i32 s33, s33, s0
	s_mul_i32 s50, s50, 9
	s_waitcnt lgkmcnt(0)
	s_mul_i32 s0, s26, s33
	s_mul_hi_u32 s1, s26, s50
	s_add_i32 s0, s1, s0
	s_mul_i32 s1, s27, s50
	s_add_i32 s35, s0, s1
	s_mul_i32 s0, s22, s33
	s_mul_hi_u32 s1, s22, s50
	s_add_i32 s0, s1, s0
	s_mul_i32 s1, s23, s50
	s_add_i32 s3, s0, s1
	v_cmp_lt_u64_e64 s[0:1], s[10:11], 3
	s_mul_i32 s34, s26, s50
	s_mul_i32 s2, s22, s50
	s_and_b64 vcc, exec, s[0:1]
	s_cbranch_vccnz .LBB0_15
; %bb.6:
	s_add_u32 s38, s30, 16
	s_addc_u32 s39, s31, 0
	s_add_u32 s40, s14, 16
	s_addc_u32 s41, s15, 0
	s_add_u32 s12, s12, 16
	v_mov_b32_e32 v1, s10
	s_addc_u32 s13, s13, 0
	s_mov_b64 s[42:43], 2
	s_mov_b32 s44, 0
	v_mov_b32_e32 v2, s11
.LBB0_7:                                ; =>This Inner Loop Header: Depth=1
	s_load_dwordx2 s[46:47], s[12:13], 0x0
	s_waitcnt lgkmcnt(0)
	s_or_b64 s[0:1], s[4:5], s[46:47]
	s_mov_b32 s45, s1
	s_cmp_lg_u64 s[44:45], 0
	s_cbranch_scc0 .LBB0_12
; %bb.8:                                ;   in Loop: Header=BB0_7 Depth=1
	v_cvt_f32_u32_e32 v3, s46
	v_cvt_f32_u32_e32 v4, s47
	s_sub_u32 s0, 0, s46
	s_subb_u32 s1, 0, s47
	v_mac_f32_e32 v3, 0x4f800000, v4
	v_rcp_f32_e32 v3, v3
	v_mul_f32_e32 v3, 0x5f7ffffc, v3
	v_mul_f32_e32 v4, 0x2f800000, v3
	v_trunc_f32_e32 v4, v4
	v_mac_f32_e32 v3, 0xcf800000, v4
	v_cvt_u32_f32_e32 v4, v4
	v_cvt_u32_f32_e32 v3, v3
	v_readfirstlane_b32 s45, v4
	v_readfirstlane_b32 s48, v3
	s_mul_i32 s49, s0, s45
	s_mul_hi_u32 s52, s0, s48
	s_mul_i32 s51, s1, s48
	s_add_i32 s49, s52, s49
	s_mul_i32 s53, s0, s48
	s_add_i32 s49, s49, s51
	s_mul_hi_u32 s51, s48, s49
	s_mul_i32 s52, s48, s49
	s_mul_hi_u32 s48, s48, s53
	s_add_u32 s48, s48, s52
	s_addc_u32 s51, 0, s51
	s_mul_hi_u32 s54, s45, s53
	s_mul_i32 s53, s45, s53
	s_add_u32 s48, s48, s53
	s_mul_hi_u32 s52, s45, s49
	s_addc_u32 s48, s51, s54
	s_addc_u32 s51, s52, 0
	s_mul_i32 s49, s45, s49
	s_add_u32 s48, s48, s49
	s_addc_u32 s49, 0, s51
	v_add_co_u32_e32 v3, vcc, s48, v3
	s_cmp_lg_u64 vcc, 0
	s_addc_u32 s45, s45, s49
	v_readfirstlane_b32 s49, v3
	s_mul_i32 s48, s0, s45
	s_mul_hi_u32 s51, s0, s49
	s_add_i32 s48, s51, s48
	s_mul_i32 s1, s1, s49
	s_add_i32 s48, s48, s1
	s_mul_i32 s0, s0, s49
	s_mul_hi_u32 s51, s45, s0
	s_mul_i32 s52, s45, s0
	s_mul_i32 s54, s49, s48
	s_mul_hi_u32 s0, s49, s0
	s_mul_hi_u32 s53, s49, s48
	s_add_u32 s0, s0, s54
	s_addc_u32 s49, 0, s53
	s_add_u32 s0, s0, s52
	s_mul_hi_u32 s1, s45, s48
	s_addc_u32 s0, s49, s51
	s_addc_u32 s1, s1, 0
	s_mul_i32 s48, s45, s48
	s_add_u32 s0, s0, s48
	s_addc_u32 s1, 0, s1
	v_add_co_u32_e32 v3, vcc, s0, v3
	s_cmp_lg_u64 vcc, 0
	s_addc_u32 s0, s45, s1
	v_readfirstlane_b32 s48, v3
	s_mul_i32 s45, s4, s0
	s_mul_hi_u32 s49, s4, s48
	s_mul_hi_u32 s1, s4, s0
	s_add_u32 s45, s49, s45
	s_addc_u32 s1, 0, s1
	s_mul_hi_u32 s51, s5, s48
	s_mul_i32 s48, s5, s48
	s_add_u32 s45, s45, s48
	s_mul_hi_u32 s49, s5, s0
	s_addc_u32 s1, s1, s51
	s_addc_u32 s45, s49, 0
	s_mul_i32 s0, s5, s0
	s_add_u32 s48, s1, s0
	s_addc_u32 s45, 0, s45
	s_mul_i32 s0, s46, s45
	s_mul_hi_u32 s1, s46, s48
	s_add_i32 s0, s1, s0
	s_mul_i32 s1, s47, s48
	s_add_i32 s49, s0, s1
	s_mul_i32 s1, s46, s48
	v_mov_b32_e32 v3, s1
	s_sub_i32 s0, s5, s49
	v_sub_co_u32_e32 v3, vcc, s4, v3
	s_cmp_lg_u64 vcc, 0
	s_subb_u32 s51, s0, s47
	v_subrev_co_u32_e64 v4, s[0:1], s46, v3
	s_cmp_lg_u64 s[0:1], 0
	s_subb_u32 s0, s51, 0
	s_cmp_ge_u32 s0, s47
	v_readfirstlane_b32 s51, v4
	s_cselect_b32 s1, -1, 0
	s_cmp_ge_u32 s51, s46
	s_cselect_b32 s51, -1, 0
	s_cmp_eq_u32 s0, s47
	s_cselect_b32 s0, s51, s1
	s_add_u32 s1, s48, 1
	s_addc_u32 s51, s45, 0
	s_add_u32 s52, s48, 2
	s_addc_u32 s53, s45, 0
	s_cmp_lg_u32 s0, 0
	s_cselect_b32 s0, s52, s1
	s_cselect_b32 s1, s53, s51
	s_cmp_lg_u64 vcc, 0
	s_subb_u32 s49, s5, s49
	s_cmp_ge_u32 s49, s47
	v_readfirstlane_b32 s52, v3
	s_cselect_b32 s51, -1, 0
	s_cmp_ge_u32 s52, s46
	s_cselect_b32 s52, -1, 0
	s_cmp_eq_u32 s49, s47
	s_cselect_b32 s49, s52, s51
	s_cmp_lg_u32 s49, 0
	s_cselect_b32 s1, s1, s45
	s_cselect_b32 s0, s0, s48
	s_cbranch_execnz .LBB0_10
.LBB0_9:                                ;   in Loop: Header=BB0_7 Depth=1
	v_cvt_f32_u32_e32 v3, s46
	s_sub_i32 s0, 0, s46
	v_rcp_iflag_f32_e32 v3, v3
	v_mul_f32_e32 v3, 0x4f7ffffe, v3
	v_cvt_u32_f32_e32 v3, v3
	v_readfirstlane_b32 s1, v3
	s_mul_i32 s0, s0, s1
	s_mul_hi_u32 s0, s1, s0
	s_add_i32 s1, s1, s0
	s_mul_hi_u32 s0, s4, s1
	s_mul_i32 s45, s0, s46
	s_sub_i32 s45, s4, s45
	s_add_i32 s1, s0, 1
	s_sub_i32 s48, s45, s46
	s_cmp_ge_u32 s45, s46
	s_cselect_b32 s0, s1, s0
	s_cselect_b32 s45, s48, s45
	s_add_i32 s1, s0, 1
	s_cmp_ge_u32 s45, s46
	s_cselect_b32 s0, s1, s0
	s_mov_b32 s1, s44
.LBB0_10:                               ;   in Loop: Header=BB0_7 Depth=1
	s_mul_i32 s37, s46, s37
	s_mul_hi_u32 s45, s46, s36
	s_add_i32 s37, s45, s37
	s_mul_i32 s45, s47, s36
	s_add_i32 s37, s37, s45
	s_mul_i32 s45, s0, s47
	s_mul_hi_u32 s47, s0, s46
	s_load_dwordx2 s[48:49], s[40:41], 0x0
	s_add_i32 s45, s47, s45
	s_mul_i32 s47, s1, s46
	s_mul_i32 s36, s46, s36
	s_add_i32 s45, s45, s47
	s_mul_i32 s46, s0, s46
	s_sub_u32 s46, s4, s46
	s_subb_u32 s45, s5, s45
	s_waitcnt lgkmcnt(0)
	s_mul_i32 s4, s48, s45
	s_mul_hi_u32 s5, s48, s46
	s_add_i32 s47, s5, s4
	s_load_dwordx2 s[4:5], s[38:39], 0x0
	s_mul_i32 s49, s49, s46
	s_add_i32 s47, s47, s49
	s_mul_i32 s48, s48, s46
	s_add_u32 s34, s48, s34
	s_addc_u32 s35, s47, s35
	s_waitcnt lgkmcnt(0)
	s_mul_i32 s45, s4, s45
	s_mul_hi_u32 s47, s4, s46
	s_add_i32 s45, s47, s45
	s_mul_i32 s5, s5, s46
	s_add_i32 s45, s45, s5
	s_mul_i32 s4, s4, s46
	s_add_u32 s2, s4, s2
	s_addc_u32 s3, s45, s3
	s_add_u32 s42, s42, 1
	s_addc_u32 s43, s43, 0
	;; [unrolled: 2-line block ×4, first 2 shown]
	v_cmp_ge_u64_e32 vcc, s[42:43], v[1:2]
	s_add_u32 s12, s12, 8
	s_addc_u32 s13, s13, 0
	s_cbranch_vccnz .LBB0_13
; %bb.11:                               ;   in Loop: Header=BB0_7 Depth=1
	s_mov_b64 s[4:5], s[0:1]
	s_branch .LBB0_7
.LBB0_12:                               ;   in Loop: Header=BB0_7 Depth=1
                                        ; implicit-def: $sgpr0_sgpr1
	s_branch .LBB0_9
.LBB0_13:
	v_mov_b32_e32 v1, s36
	v_mov_b32_e32 v2, s37
	v_cmp_lt_u64_e32 vcc, s[6:7], v[1:2]
	s_mov_b64 s[4:5], 0
	s_cbranch_vccnz .LBB0_15
; %bb.14:
	v_cvt_f32_u32_e32 v1, s36
	s_sub_i32 s0, 0, s36
	v_rcp_iflag_f32_e32 v1, v1
	v_mul_f32_e32 v1, 0x4f7ffffe, v1
	v_cvt_u32_f32_e32 v1, v1
	v_readfirstlane_b32 s1, v1
	s_mul_i32 s0, s0, s1
	s_mul_hi_u32 s0, s1, s0
	s_add_i32 s1, s1, s0
	s_mul_hi_u32 s0, s6, s1
	s_mul_i32 s4, s0, s36
	s_sub_i32 s4, s6, s4
	s_add_i32 s1, s0, 1
	s_sub_i32 s5, s4, s36
	s_cmp_ge_u32 s4, s36
	s_cselect_b32 s0, s1, s0
	s_cselect_b32 s4, s5, s4
	s_add_i32 s1, s0, 1
	s_cmp_ge_u32 s4, s36
	s_cselect_b32 s4, s1, s0
.LBB0_15:
	s_lshl_b64 s[10:11], s[10:11], 3
	s_mov_b32 s1, 0x1c71c71d
	s_add_u32 s6, s30, s10
	v_mul_hi_u32 v128, v0, s1
	s_addc_u32 s7, s31, s11
	s_add_u32 s0, s50, 9
	v_mov_b32_e32 v1, s8
	s_addc_u32 s1, s33, 0
	v_mov_b32_e32 v2, s9
	v_cmp_le_u64_e32 vcc, s[0:1], v[1:2]
	v_mul_u32_u24_e32 v1, 9, v128
	v_sub_u32_e32 v133, v0, v1
	v_mov_b32_e32 v2, s33
	v_add_co_u32_e64 v1, s[0:1], s50, v133
	v_addc_co_u32_e64 v2, s[0:1], 0, v2, s[0:1]
	v_cmp_gt_u64_e64 s[0:1], s[8:9], v[1:2]
	v_lshlrev_b32_e32 v134, 3, v128
	s_or_b64 s[0:1], vcc, s[0:1]
	v_add_u32_e32 v132, 16, v128
	v_or_b32_e32 v131, 32, v128
	v_add_u32_e32 v130, 48, v128
	v_or_b32_e32 v129, 64, v128
	s_and_saveexec_b64 s[8:9], s[0:1]
	s_cbranch_execz .LBB0_17
; %bb.16:
	s_add_u32 s10, s14, s10
	s_addc_u32 s11, s15, s11
	s_load_dwordx2 s[10:11], s[10:11], 0x0
	v_mad_u64_u32 v[1:2], s[12:13], s26, v133, 0
	v_mad_u64_u32 v[3:4], s[12:13], s24, v128, 0
	s_waitcnt lgkmcnt(0)
	s_mul_i32 s5, s11, s4
	s_mul_hi_u32 s11, s10, s4
	s_add_i32 s11, s11, s5
	s_mul_i32 s10, s10, s4
	v_mad_u64_u32 v[5:6], s[12:13], s27, v133, v[2:3]
	v_mov_b32_e32 v2, v4
	s_lshl_b64 s[10:11], s[10:11], 3
	v_mad_u64_u32 v[6:7], s[12:13], s25, v128, v[2:3]
	s_add_u32 s5, s16, s10
	s_addc_u32 s12, s17, s11
	s_lshl_b64 s[10:11], s[34:35], 3
	s_add_u32 s5, s5, s10
	s_addc_u32 s10, s12, s11
	v_mov_b32_e32 v2, v5
	v_mov_b32_e32 v4, v6
	;; [unrolled: 1-line block ×3, first 2 shown]
	v_mad_u64_u32 v[5:6], s[10:11], s24, v132, 0
	v_lshlrev_b64 v[1:2], 3, v[1:2]
	v_mad_u64_u32 v[9:10], s[10:11], s24, v130, 0
	v_add_co_u32_e32 v31, vcc, s5, v1
	v_addc_co_u32_e32 v32, vcc, v7, v2, vcc
	v_lshlrev_b64 v[1:2], 3, v[3:4]
	v_mov_b32_e32 v3, v6
	v_mad_u64_u32 v[3:4], s[10:11], s25, v132, v[3:4]
	v_mad_u64_u32 v[7:8], s[10:11], s24, v131, 0
	v_mov_b32_e32 v6, v3
	v_lshlrev_b64 v[3:4], 3, v[5:6]
	v_mov_b32_e32 v5, v8
	v_mad_u64_u32 v[5:6], s[10:11], s25, v131, v[5:6]
	v_add_co_u32_e32 v1, vcc, v31, v1
	v_mov_b32_e32 v8, v5
	v_lshlrev_b64 v[5:6], 3, v[7:8]
	v_mov_b32_e32 v7, v10
	v_mad_u64_u32 v[7:8], s[10:11], s25, v130, v[7:8]
	v_addc_co_u32_e32 v2, vcc, v32, v2, vcc
	v_add_co_u32_e32 v3, vcc, v31, v3
	v_addc_co_u32_e32 v4, vcc, v32, v4, vcc
	v_mov_b32_e32 v10, v7
	v_add_co_u32_e32 v5, vcc, v31, v5
	v_lshlrev_b64 v[7:8], 3, v[9:10]
	v_addc_co_u32_e32 v6, vcc, v32, v6, vcc
	v_add_co_u32_e32 v7, vcc, v31, v7
	v_addc_co_u32_e32 v8, vcc, v32, v8, vcc
	global_load_dwordx2 v[9:10], v[1:2], off
	global_load_dwordx2 v[11:12], v[3:4], off
	;; [unrolled: 1-line block ×4, first 2 shown]
	v_add_u32_e32 v7, 0x50, v128
	v_mad_u64_u32 v[1:2], s[10:11], s24, v129, 0
	v_mad_u64_u32 v[3:4], s[10:11], s24, v7, 0
	v_or_b32_e32 v17, 0x60, v128
	v_add_u32_e32 v19, 0x70, v128
	v_mad_u64_u32 v[5:6], s[10:11], s25, v129, v[2:3]
	v_mov_b32_e32 v2, v4
	v_mad_u64_u32 v[6:7], s[10:11], s25, v7, v[2:3]
	v_mad_u64_u32 v[7:8], s[10:11], s24, v17, 0
	v_mov_b32_e32 v2, v5
	v_mov_b32_e32 v4, v6
	;; [unrolled: 1-line block ×3, first 2 shown]
	v_mad_u64_u32 v[5:6], s[10:11], s25, v17, v[5:6]
	v_mad_u64_u32 v[17:18], s[10:11], s24, v19, 0
	v_mov_b32_e32 v8, v5
	v_lshlrev_b64 v[5:6], 3, v[7:8]
	v_mov_b32_e32 v7, v18
	v_mad_u64_u32 v[7:8], s[10:11], s25, v19, v[7:8]
	v_or_b32_e32 v19, 0x80, v128
	v_lshlrev_b64 v[1:2], 3, v[1:2]
	v_mov_b32_e32 v18, v7
	v_lshlrev_b64 v[7:8], 3, v[17:18]
	v_mad_u64_u32 v[17:18], s[10:11], s24, v19, 0
	v_add_co_u32_e32 v1, vcc, v31, v1
	v_lshlrev_b64 v[3:4], 3, v[3:4]
	v_addc_co_u32_e32 v2, vcc, v32, v2, vcc
	v_add_co_u32_e32 v3, vcc, v31, v3
	v_mad_u64_u32 v[18:19], s[10:11], s25, v19, v[18:19]
	v_add_u32_e32 v29, 0x90, v128
	v_addc_co_u32_e32 v4, vcc, v32, v4, vcc
	v_mad_u64_u32 v[19:20], s[10:11], s24, v29, 0
	v_add_co_u32_e32 v5, vcc, v31, v5
	v_addc_co_u32_e32 v6, vcc, v32, v6, vcc
	v_add_co_u32_e32 v7, vcc, v31, v7
	v_addc_co_u32_e32 v8, vcc, v32, v8, vcc
	global_load_dwordx2 v[21:22], v[1:2], off
	global_load_dwordx2 v[23:24], v[3:4], off
	;; [unrolled: 1-line block ×4, first 2 shown]
	v_mov_b32_e32 v3, v20
	v_mad_u64_u32 v[3:4], s[10:11], s25, v29, v[3:4]
	v_or_b32_e32 v8, 0xa0, v128
	v_mad_u64_u32 v[4:5], s[10:11], s24, v8, 0
	v_mov_b32_e32 v20, v3
	v_lshlrev_b64 v[1:2], 3, v[17:18]
	v_mov_b32_e32 v3, v5
	v_mad_u64_u32 v[17:18], s[10:11], s25, v8, v[3:4]
	v_add_u32_e32 v8, 0xb0, v128
	v_lshlrev_b64 v[6:7], 3, v[19:20]
	v_mad_u64_u32 v[18:19], s[10:11], s24, v8, 0
	v_add_co_u32_e32 v1, vcc, v31, v1
	v_addc_co_u32_e32 v2, vcc, v32, v2, vcc
	v_mov_b32_e32 v5, v17
	v_add_co_u32_e32 v6, vcc, v31, v6
	v_lshlrev_b64 v[3:4], 3, v[4:5]
	v_mov_b32_e32 v5, v19
	v_mad_u64_u32 v[19:20], s[10:11], s25, v8, v[5:6]
	v_or_b32_e32 v8, 0xc0, v128
	v_mad_u64_u32 v[29:30], s[10:11], s24, v8, 0
	v_lshlrev_b64 v[17:18], 3, v[18:19]
	v_addc_co_u32_e32 v7, vcc, v32, v7, vcc
	v_mov_b32_e32 v5, v30
	v_mad_u64_u32 v[19:20], s[10:11], s25, v8, v[5:6]
	v_add_co_u32_e32 v3, vcc, v31, v3
	v_addc_co_u32_e32 v4, vcc, v32, v4, vcc
	v_mov_b32_e32 v30, v19
	v_add_co_u32_e32 v17, vcc, v31, v17
	v_lshlrev_b64 v[19:20], 3, v[29:30]
	v_addc_co_u32_e32 v18, vcc, v32, v18, vcc
	v_add_co_u32_e32 v19, vcc, v31, v19
	v_addc_co_u32_e32 v20, vcc, v32, v20, vcc
	global_load_dwordx2 v[29:30], v[1:2], off
	global_load_dwordx2 v[31:32], v[6:7], off
	;; [unrolled: 1-line block ×5, first 2 shown]
	s_movk_i32 s5, 0x680
	v_mul_lo_u32 v1, v133, s5
	v_add3_u32 v1, 0, v1, v134
	s_waitcnt vmcnt(11)
	ds_write2_b64 v1, v[9:10], v[11:12] offset1:16
	s_waitcnt vmcnt(9)
	ds_write2_b64 v1, v[13:14], v[15:16] offset0:32 offset1:48
	s_waitcnt vmcnt(7)
	ds_write2_b64 v1, v[21:22], v[23:24] offset0:64 offset1:80
	;; [unrolled: 2-line block ×5, first 2 shown]
	s_waitcnt vmcnt(0)
	ds_write_b64 v1, v[37:38] offset:1536
.LBB0_17:
	s_or_b64 exec, exec, s[8:9]
	s_add_u32 s5, 0, 0x71c4fc00
	s_addc_u32 s8, 0, 0x7c
	s_add_i32 s8, s8, 0x1c71c6a0
	s_mul_hi_u32 s12, s5, -9
	s_sub_i32 s12, s12, s5
	s_mul_i32 s13, s8, -9
	s_mul_i32 s9, s5, -9
	s_add_i32 s12, s12, s13
	s_mul_hi_u32 s10, s8, s9
	s_mul_i32 s11, s8, s9
	s_mul_i32 s14, s5, s12
	s_mul_hi_u32 s9, s5, s9
	s_mul_hi_u32 s13, s5, s12
	s_add_u32 s9, s9, s14
	s_addc_u32 s13, 0, s13
	s_add_u32 s9, s9, s11
	s_mul_hi_u32 s14, s8, s12
	s_addc_u32 s9, s13, s10
	v_lshrrev_b32_e32 v1, 4, v0
	s_addc_u32 s10, s14, 0
	s_mul_i32 s11, s8, s12
	v_mov_b32_e32 v2, s33
	v_add_co_u32_e32 v10, vcc, s50, v1
	s_add_u32 s9, s9, s11
	v_addc_co_u32_e32 v5, vcc, 0, v2, vcc
	v_mov_b32_e32 v1, s9
	s_addc_u32 s10, 0, s10
	v_add_co_u32_e32 v3, vcc, s5, v1
	s_cmp_lg_u64 vcc, 0
	s_addc_u32 s5, s8, s10
	v_mad_u64_u32 v[1:2], s[8:9], v10, s5, 0
	v_mul_hi_u32 v4, v10, v3
	v_and_b32_e32 v11, 15, v0
	s_load_dwordx2 s[6:7], s[6:7], 0x0
	s_waitcnt lgkmcnt(0)
	v_add_co_u32_e32 v6, vcc, v4, v1
	v_addc_co_u32_e32 v7, vcc, 0, v2, vcc
	v_mad_u64_u32 v[1:2], s[8:9], v5, v3, 0
	v_mad_u64_u32 v[3:4], s[8:9], v5, s5, 0
	v_add_co_u32_e32 v1, vcc, v6, v1
	v_addc_co_u32_e32 v1, vcc, v7, v2, vcc
	v_addc_co_u32_e32 v2, vcc, 0, v4, vcc
	v_add_co_u32_e32 v1, vcc, v1, v3
	v_addc_co_u32_e32 v3, vcc, 0, v2, vcc
	v_mad_u64_u32 v[1:2], s[8:9], v1, 9, 0
	s_barrier
	v_mad_u64_u32 v[2:3], s[8:9], v3, 9, v[2:3]
	v_sub_co_u32_e32 v1, vcc, v10, v1
	v_subb_co_u32_e32 v2, vcc, v5, v2, vcc
	v_subrev_co_u32_e32 v3, vcc, 9, v1
	v_subbrev_co_u32_e32 v4, vcc, 0, v2, vcc
	v_cmp_lt_u32_e32 vcc, 8, v3
	v_cndmask_b32_e64 v5, 0, -1, vcc
	v_cmp_eq_u32_e32 vcc, 0, v4
	v_cndmask_b32_e32 v4, -1, v5, vcc
	v_add_u32_e32 v5, -9, v3
	v_cmp_ne_u32_e32 vcc, 0, v4
	v_cndmask_b32_e32 v3, v3, v5, vcc
	v_cmp_lt_u32_e32 vcc, 8, v1
	v_cndmask_b32_e64 v4, 0, -1, vcc
	v_cmp_eq_u32_e32 vcc, 0, v2
	v_cndmask_b32_e32 v2, -1, v4, vcc
	v_cmp_ne_u32_e32 vcc, 0, v2
	v_cndmask_b32_e32 v1, v1, v3, vcc
	v_mul_u32_u24_e32 v1, 0xd0, v1
	v_lshlrev_b32_e32 v0, 3, v1
	v_add_u32_e32 v12, 0, v0
	v_lshlrev_b32_e32 v1, 3, v11
	v_add_u32_e32 v136, v12, v1
	ds_read_b64 v[29:30], v136
	v_add3_u32 v135, 0, v1, v0
	ds_read2_b64 v[13:16], v135 offset0:16 offset1:32
	ds_read2_b64 v[17:20], v135 offset0:48 offset1:64
	;; [unrolled: 1-line block ×6, first 2 shown]
	s_mov_b32 s11, 0x3f62ad3f
	s_mov_b32 s9, 0x3f116cb1
	s_waitcnt lgkmcnt(5)
	v_add_f32_e32 v8, v29, v13
	v_add_f32_e32 v9, v30, v14
	v_add_f32_e32 v8, v8, v15
	v_add_f32_e32 v9, v9, v16
	s_waitcnt lgkmcnt(4)
	v_add_f32_e32 v8, v8, v17
	v_add_f32_e32 v9, v9, v18
	v_add_f32_e32 v8, v8, v19
	v_add_f32_e32 v9, v9, v20
	;; [unrolled: 5-line block ×4, first 2 shown]
	s_waitcnt lgkmcnt(1)
	v_add_f32_e32 v8, v8, v21
	s_waitcnt lgkmcnt(0)
	v_add_f32_e32 v31, v27, v13
	v_sub_f32_e32 v13, v13, v27
	v_add_f32_e32 v9, v9, v22
	v_add_f32_e32 v8, v8, v23
	v_mul_f32_e32 v33, 0xbeedf032, v13
	v_mul_f32_e32 v37, 0xbf52af12, v13
	;; [unrolled: 1-line block ×6, first 2 shown]
	v_add_f32_e32 v9, v9, v24
	v_add_f32_e32 v8, v8, v25
	;; [unrolled: 1-line block ×3, first 2 shown]
	v_sub_f32_e32 v14, v14, v28
	v_mov_b32_e32 v34, v33
	v_mov_b32_e32 v38, v37
	s_mov_b32 s5, 0x3df6dbef
	v_mov_b32_e32 v42, v41
	s_mov_b32 s8, 0xbeb58ec6
	;; [unrolled: 2-line block ×4, first 2 shown]
	v_mov_b32_e32 v52, v13
	v_add_f32_e32 v9, v9, v26
	v_add_f32_e32 v8, v8, v27
	v_mul_f32_e32 v27, 0xbeedf032, v14
	v_fmac_f32_e32 v34, 0x3f62ad3f, v32
	v_fma_f32 v33, v32, s11, -v33
	v_mul_f32_e32 v35, 0xbf52af12, v14
	v_fmac_f32_e32 v38, 0x3f116cb1, v32
	v_fma_f32 v37, v32, s9, -v37
	;; [unrolled: 3-line block ×6, first 2 shown]
	v_add_f32_e32 v9, v9, v28
	v_fma_f32 v28, v31, s11, -v27
	v_add_f32_e32 v34, v30, v34
	v_fmac_f32_e32 v27, 0x3f62ad3f, v31
	v_add_f32_e32 v33, v30, v33
	v_fma_f32 v36, v31, s9, -v35
	v_add_f32_e32 v38, v30, v38
	v_fmac_f32_e32 v35, 0x3f116cb1, v31
	;; [unrolled: 4-line block ×6, first 2 shown]
	v_add_f32_e32 v13, v30, v13
	v_add_f32_e32 v30, v26, v16
	v_sub_f32_e32 v16, v16, v26
	v_add_f32_e32 v28, v29, v28
	v_add_f32_e32 v27, v29, v27
	;; [unrolled: 1-line block ×13, first 2 shown]
	v_sub_f32_e32 v15, v15, v25
	v_mul_f32_e32 v25, 0xbf52af12, v16
	v_fma_f32 v26, v29, s9, -v25
	v_add_f32_e32 v26, v26, v28
	v_mul_f32_e32 v28, 0xbf52af12, v15
	v_fmac_f32_e32 v25, 0x3f116cb1, v29
	v_mov_b32_e32 v31, v28
	v_add_f32_e32 v25, v25, v27
	v_fma_f32 v27, v30, s9, -v28
	v_mul_f32_e32 v28, 0xbf6f5d39, v16
	v_fma_f32 v32, v29, s8, -v28
	v_fmac_f32_e32 v28, 0xbeb58ec6, v29
	v_fmac_f32_e32 v31, 0x3f116cb1, v30
	v_add_f32_e32 v27, v27, v33
	v_mul_f32_e32 v33, 0xbf6f5d39, v15
	v_add_f32_e32 v28, v28, v35
	v_mul_f32_e32 v35, 0xbe750f2a, v16
	v_add_f32_e32 v31, v31, v34
	v_add_f32_e32 v32, v32, v36
	v_mov_b32_e32 v34, v33
	v_fma_f32 v33, v30, s8, -v33
	v_fma_f32 v36, v29, s12, -v35
	v_fmac_f32_e32 v35, 0xbf788fa5, v29
	v_fmac_f32_e32 v34, 0xbeb58ec6, v30
	v_add_f32_e32 v33, v33, v37
	v_mul_f32_e32 v37, 0xbe750f2a, v15
	v_add_f32_e32 v35, v35, v39
	v_mul_f32_e32 v39, 0x3f29c268, v16
	v_add_f32_e32 v34, v34, v38
	v_add_f32_e32 v36, v36, v40
	v_mov_b32_e32 v38, v37
	v_fma_f32 v37, v30, s12, -v37
	v_fma_f32 v40, v29, s10, -v39
	v_fmac_f32_e32 v39, 0xbf3f9e67, v29
	v_fmac_f32_e32 v38, 0xbf788fa5, v30
	v_add_f32_e32 v37, v37, v41
	v_mul_f32_e32 v41, 0x3f29c268, v15
	v_add_f32_e32 v39, v39, v43
	v_mul_f32_e32 v43, 0x3f7e222b, v16
	v_add_f32_e32 v38, v38, v42
	v_add_f32_e32 v40, v40, v44
	v_mov_b32_e32 v42, v41
	v_fma_f32 v41, v30, s10, -v41
	v_fma_f32 v44, v29, s5, -v43
	v_fmac_f32_e32 v43, 0x3df6dbef, v29
	v_mul_f32_e32 v16, 0x3eedf032, v16
	v_add_f32_e32 v41, v41, v45
	v_mul_f32_e32 v45, 0x3f7e222b, v15
	v_add_f32_e32 v43, v43, v47
	v_fma_f32 v47, v29, s11, -v16
	v_mul_f32_e32 v15, 0x3eedf032, v15
	v_fmac_f32_e32 v16, 0x3f62ad3f, v29
	v_add_f32_e32 v44, v44, v48
	v_mov_b32_e32 v48, v15
	v_add_f32_e32 v14, v16, v14
	v_fma_f32 v15, v30, s11, -v15
	v_add_f32_e32 v16, v24, v18
	v_sub_f32_e32 v18, v18, v24
	v_add_f32_e32 v13, v15, v13
	v_add_f32_e32 v15, v23, v17
	v_sub_f32_e32 v17, v17, v23
	v_mul_f32_e32 v23, 0xbf7e222b, v18
	v_fma_f32 v24, v15, s5, -v23
	v_fmac_f32_e32 v42, 0xbf3f9e67, v30
	v_add_f32_e32 v24, v24, v26
	v_mul_f32_e32 v26, 0xbf7e222b, v17
	v_fmac_f32_e32 v23, 0x3df6dbef, v15
	v_add_f32_e32 v42, v42, v46
	v_mov_b32_e32 v46, v45
	v_mov_b32_e32 v29, v26
	v_add_f32_e32 v23, v23, v25
	v_fma_f32 v25, v16, s5, -v26
	v_mul_f32_e32 v26, 0xbe750f2a, v18
	v_fmac_f32_e32 v46, 0x3df6dbef, v30
	v_fma_f32 v45, v30, s5, -v45
	v_fmac_f32_e32 v48, 0x3f62ad3f, v30
	v_fmac_f32_e32 v29, 0x3df6dbef, v16
	v_add_f32_e32 v25, v25, v27
	v_fma_f32 v27, v15, s12, -v26
	v_mul_f32_e32 v30, 0xbe750f2a, v17
	v_fmac_f32_e32 v26, 0xbf788fa5, v15
	v_add_f32_e32 v29, v29, v31
	v_mov_b32_e32 v31, v30
	v_add_f32_e32 v26, v26, v28
	v_fma_f32 v28, v16, s12, -v30
	v_mul_f32_e32 v30, 0x3f6f5d39, v18
	v_add_f32_e32 v27, v27, v32
	v_fma_f32 v32, v15, s8, -v30
	v_fmac_f32_e32 v30, 0xbeb58ec6, v15
	v_fmac_f32_e32 v31, 0xbf788fa5, v16
	v_add_f32_e32 v28, v28, v33
	v_mul_f32_e32 v33, 0x3f6f5d39, v17
	v_add_f32_e32 v30, v30, v35
	v_mul_f32_e32 v35, 0x3eedf032, v18
	v_add_f32_e32 v31, v31, v34
	v_add_f32_e32 v32, v32, v36
	v_mov_b32_e32 v34, v33
	v_fma_f32 v33, v16, s8, -v33
	v_fma_f32 v36, v15, s11, -v35
	v_fmac_f32_e32 v35, 0x3f62ad3f, v15
	v_fmac_f32_e32 v34, 0xbeb58ec6, v16
	v_add_f32_e32 v33, v33, v37
	v_mul_f32_e32 v37, 0x3eedf032, v17
	v_add_f32_e32 v35, v35, v39
	v_mul_f32_e32 v39, 0xbf52af12, v18
	v_add_f32_e32 v34, v34, v38
	v_add_f32_e32 v36, v36, v40
	v_mov_b32_e32 v38, v37
	v_fma_f32 v37, v16, s11, -v37
	v_fma_f32 v40, v15, s9, -v39
	v_fmac_f32_e32 v39, 0x3f116cb1, v15
	v_mul_f32_e32 v18, 0xbf29c268, v18
	v_add_f32_e32 v37, v37, v41
	v_mul_f32_e32 v41, 0xbf52af12, v17
	v_add_f32_e32 v39, v39, v43
	v_fma_f32 v43, v15, s10, -v18
	v_mul_f32_e32 v17, 0xbf29c268, v17
	v_fmac_f32_e32 v18, 0xbf3f9e67, v15
	v_fmac_f32_e32 v38, 0x3f62ad3f, v16
	v_add_f32_e32 v14, v18, v14
	v_fma_f32 v15, v16, s10, -v17
	v_sub_f32_e32 v18, v20, v22
	v_add_f32_e32 v38, v38, v42
	v_add_f32_e32 v40, v40, v44
	v_mov_b32_e32 v42, v41
	v_mov_b32_e32 v44, v17
	v_add_f32_e32 v13, v15, v13
	v_add_f32_e32 v15, v21, v19
	v_sub_f32_e32 v17, v19, v21
	v_mul_f32_e32 v19, 0xbf6f5d39, v18
	v_fmac_f32_e32 v42, 0x3f116cb1, v16
	v_fma_f32 v41, v16, s9, -v41
	v_fmac_f32_e32 v44, 0xbf3f9e67, v16
	v_add_f32_e32 v16, v22, v20
	v_fma_f32 v20, v15, s8, -v19
	v_mul_f32_e32 v21, 0xbf6f5d39, v17
	v_fmac_f32_e32 v19, 0xbeb58ec6, v15
	v_mov_b32_e32 v22, v21
	v_add_f32_e32 v19, v19, v23
	v_fma_f32 v21, v16, s8, -v21
	v_mul_f32_e32 v23, 0x3f29c268, v18
	v_add_f32_e32 v20, v20, v24
	v_add_f32_e32 v21, v21, v25
	v_fma_f32 v24, v15, s10, -v23
	v_mul_f32_e32 v25, 0x3f29c268, v17
	v_fmac_f32_e32 v23, 0xbf3f9e67, v15
	v_fmac_f32_e32 v22, 0xbeb58ec6, v16
	v_add_f32_e32 v24, v24, v27
	v_mov_b32_e32 v27, v25
	v_add_f32_e32 v23, v23, v26
	v_fma_f32 v25, v16, s10, -v25
	v_mul_f32_e32 v26, 0x3eedf032, v18
	v_add_f32_e32 v22, v22, v29
	v_fmac_f32_e32 v27, 0xbf3f9e67, v16
	v_add_f32_e32 v25, v25, v28
	v_fma_f32 v28, v15, s11, -v26
	v_mul_f32_e32 v29, 0x3eedf032, v17
	v_fmac_f32_e32 v26, 0x3f62ad3f, v15
	v_add_f32_e32 v27, v27, v31
	v_mov_b32_e32 v31, v29
	v_add_f32_e32 v26, v26, v30
	v_fma_f32 v29, v16, s11, -v29
	v_mul_f32_e32 v30, 0xbf7e222b, v18
	v_add_f32_e32 v28, v28, v32
	v_fmac_f32_e32 v31, 0x3f62ad3f, v16
	v_add_f32_e32 v29, v29, v33
	v_fma_f32 v32, v15, s5, -v30
	v_mul_f32_e32 v33, 0xbf7e222b, v17
	;; [unrolled: 11-line block ×3, first 2 shown]
	v_mul_f32_e32 v17, 0x3f52af12, v17
	v_add_f32_e32 v34, v34, v38
	v_add_f32_e32 v36, v36, v40
	v_mov_b32_e32 v38, v37
	v_fmac_f32_e32 v35, 0xbf788fa5, v15
	v_mul_f32_e32 v18, 0x3f52af12, v18
	v_mov_b32_e32 v40, v17
	v_fmac_f32_e32 v38, 0xbf788fa5, v16
	v_add_f32_e32 v35, v35, v39
	v_fma_f32 v37, v16, s12, -v37
	v_fma_f32 v39, v15, s9, -v18
	v_fmac_f32_e32 v40, 0x3f116cb1, v16
	v_fmac_f32_e32 v18, 0x3f116cb1, v15
	v_fma_f32 v15, v16, s9, -v17
	v_add_f32_e32 v16, v7, v1
	v_sub_f32_e32 v1, v1, v7
	v_add_f32_e32 v13, v15, v13
	v_add_f32_e32 v15, v6, v0
	v_sub_f32_e32 v0, v0, v6
	v_mul_f32_e32 v6, 0xbf29c268, v1
	v_fma_f32 v7, v15, s10, -v6
	v_add_f32_e32 v17, v7, v20
	v_mul_f32_e32 v7, 0xbf29c268, v0
	v_fmac_f32_e32 v6, 0xbf3f9e67, v15
	v_add_f32_e32 v19, v6, v19
	v_fma_f32 v6, v16, s10, -v7
	v_add_f32_e32 v20, v6, v21
	v_mul_f32_e32 v6, 0x3f7e222b, v1
	v_add_f32_e32 v14, v18, v14
	v_mov_b32_e32 v18, v7
	v_fma_f32 v7, v15, s5, -v6
	v_add_f32_e32 v21, v7, v24
	v_mul_f32_e32 v7, 0x3f7e222b, v0
	v_fmac_f32_e32 v6, 0x3df6dbef, v15
	v_fmac_f32_e32 v18, 0xbf3f9e67, v16
	v_add_f32_e32 v23, v6, v23
	v_fma_f32 v6, v16, s5, -v7
	v_add_f32_e32 v18, v18, v22
	v_mov_b32_e32 v22, v7
	v_add_f32_e32 v25, v6, v25
	v_mul_f32_e32 v6, 0xbf52af12, v1
	v_fmac_f32_e32 v22, 0x3df6dbef, v16
	v_fma_f32 v7, v15, s9, -v6
	v_add_f32_e32 v22, v22, v27
	v_add_f32_e32 v27, v7, v28
	v_mul_f32_e32 v7, 0xbf52af12, v0
	v_fmac_f32_e32 v6, 0x3f116cb1, v15
	v_add_f32_e32 v26, v6, v26
	v_fma_f32 v6, v16, s9, -v7
	v_mov_b32_e32 v24, v7
	v_add_f32_e32 v29, v6, v29
	v_mul_f32_e32 v6, 0x3e750f2a, v1
	v_add_f32_e32 v46, v46, v50
	v_fmac_f32_e32 v24, 0x3f116cb1, v16
	v_fma_f32 v7, v15, s12, -v6
	v_add_f32_e32 v47, v47, v51
	v_add_f32_e32 v42, v42, v46
	;; [unrolled: 1-line block ×4, first 2 shown]
	v_mul_f32_e32 v7, 0x3e750f2a, v0
	v_fmac_f32_e32 v6, 0xbf788fa5, v15
	v_add_f32_e32 v43, v43, v47
	v_add_f32_e32 v38, v38, v42
	;; [unrolled: 1-line block ×3, first 2 shown]
	v_fma_f32 v6, v16, s12, -v7
	v_add_f32_e32 v39, v39, v43
	v_add_f32_e32 v43, v6, v33
	v_mul_f32_e32 v6, 0x3eedf032, v1
	v_add_f32_e32 v45, v45, v49
	v_mov_b32_e32 v24, v7
	v_fma_f32 v7, v15, s11, -v6
	v_add_f32_e32 v41, v41, v45
	v_add_f32_e32 v36, v7, v36
	v_mul_f32_e32 v7, 0x3eedf032, v0
	v_fmac_f32_e32 v6, 0x3f62ad3f, v15
	v_add_f32_e32 v37, v37, v41
	v_add_f32_e32 v45, v6, v35
	v_fma_f32 v6, v16, s11, -v7
	v_mul_f32_e32 v1, 0xbf6f5d39, v1
	v_add_f32_e32 v48, v48, v52
	v_add_f32_e32 v37, v6, v37
	v_fma_f32 v6, v15, s8, -v1
	v_mul_f32_e32 v0, 0xbf6f5d39, v0
	v_add_f32_e32 v44, v44, v48
	v_add_f32_e32 v46, v6, v39
	v_mov_b32_e32 v6, v0
	v_add_f32_e32 v40, v40, v44
	v_fmac_f32_e32 v24, 0xbf788fa5, v16
	v_fmac_f32_e32 v6, 0xbeb58ec6, v16
	;; [unrolled: 1-line block ×3, first 2 shown]
	v_fma_f32 v0, v16, s8, -v0
	v_add_f32_e32 v41, v24, v34
	v_mov_b32_e32 v24, v7
	v_add_f32_e32 v47, v6, v40
	v_add_f32_e32 v7, v1, v14
	v_add_f32_e32 v6, v0, v13
	v_add_f32_e32 v13, v4, v2
	v_add_f32_e32 v14, v5, v3
	v_sub_f32_e32 v4, v2, v4
	v_sub_f32_e32 v5, v3, v5
	v_mul_f32_e32 v3, 0xbe750f2a, v4
	v_mul_f32_e32 v15, 0x3eedf032, v5
	v_fmac_f32_e32 v24, 0x3f62ad3f, v16
	v_mov_b32_e32 v1, v3
	v_fma_f32 v3, v14, s12, -v3
	v_fma_f32 v16, v13, s11, -v15
	v_add_f32_e32 v3, v3, v20
	v_add_f32_e32 v20, v16, v21
	v_mul_f32_e32 v16, 0x3eedf032, v4
	v_fmac_f32_e32 v15, 0x3f62ad3f, v13
	v_add_f32_e32 v44, v24, v38
	v_mul_f32_e32 v2, 0xbe750f2a, v5
	v_add_f32_e32 v24, v15, v23
	v_fma_f32 v15, v14, s11, -v16
	v_fma_f32 v0, v13, s12, -v2
	v_add_f32_e32 v25, v15, v25
	v_mul_f32_e32 v15, 0xbf29c268, v5
	v_add_f32_e32 v0, v0, v17
	v_mov_b32_e32 v17, v16
	v_fma_f32 v16, v13, s10, -v15
	v_add_f32_e32 v34, v16, v27
	v_mul_f32_e32 v16, 0xbf29c268, v4
	v_fmac_f32_e32 v15, 0xbf3f9e67, v13
	v_add_f32_e32 v32, v15, v26
	v_fma_f32 v15, v14, s10, -v16
	v_fmac_f32_e32 v17, 0x3f62ad3f, v14
	v_add_f32_e32 v33, v15, v29
	v_mul_f32_e32 v15, 0x3f52af12, v5
	v_add_f32_e32 v21, v17, v22
	v_mov_b32_e32 v17, v16
	v_fma_f32 v16, v13, s9, -v15
	v_add_f32_e32 v30, v16, v31
	v_mul_f32_e32 v16, 0x3f52af12, v4
	v_fmac_f32_e32 v15, 0x3f116cb1, v13
	v_add_f32_e32 v38, v15, v42
	v_fma_f32 v15, v14, s9, -v16
	v_fmac_f32_e32 v17, 0xbf3f9e67, v14
	v_add_f32_e32 v39, v15, v43
	v_mul_f32_e32 v15, 0xbf6f5d39, v5
	v_add_f32_e32 v35, v17, v28
	v_mov_b32_e32 v17, v16
	v_fma_f32 v16, v13, s8, -v15
	v_add_f32_e32 v40, v16, v36
	v_mul_f32_e32 v16, 0xbf6f5d39, v4
	v_fmac_f32_e32 v15, 0xbeb58ec6, v13
	v_add_f32_e32 v36, v15, v45
	v_fma_f32 v15, v14, s8, -v16
	v_mul_f32_e32 v5, 0x3f7e222b, v5
	v_fmac_f32_e32 v17, 0x3f116cb1, v14
	v_add_f32_e32 v37, v15, v37
	v_fma_f32 v15, v13, s5, -v5
	v_mul_f32_e32 v4, 0x3f7e222b, v4
	v_add_f32_e32 v31, v17, v41
	v_mov_b32_e32 v17, v16
	v_add_f32_e32 v52, v15, v46
	v_mov_b32_e32 v15, v4
	v_fmac_f32_e32 v1, 0xbf788fa5, v14
	v_fmac_f32_e32 v2, 0xbf788fa5, v13
	;; [unrolled: 1-line block ×5, first 2 shown]
	v_fma_f32 v4, v14, s5, -v4
	s_movk_i32 s5, 0x68
	v_add_f32_e32 v1, v1, v18
	v_add_f32_e32 v2, v2, v19
	;; [unrolled: 1-line block ×6, first 2 shown]
	v_mad_u32_u24 v4, v11, s5, v12
	v_cmp_gt_u32_e32 vcc, 13, v11
	s_barrier
	ds_write2_b64 v4, v[8:9], v[0:1] offset1:1
	ds_write2_b64 v4, v[20:21], v[34:35] offset0:2 offset1:3
	ds_write2_b64 v4, v[30:31], v[40:41] offset0:4 offset1:5
	;; [unrolled: 1-line block ×5, first 2 shown]
	ds_write_b64 v4, v[2:3] offset:96
	s_waitcnt lgkmcnt(0)
	s_barrier
	s_waitcnt lgkmcnt(0)
                                        ; implicit-def: $vgpr5
                                        ; implicit-def: $vgpr79
	s_and_saveexec_b64 s[8:9], vcc
	s_cbranch_execz .LBB0_19
; %bb.18:
	ds_read2_b64 v[12:15], v135 offset0:13 offset1:26
	ds_read2_b64 v[16:19], v135 offset0:39 offset1:52
	;; [unrolled: 1-line block ×7, first 2 shown]
	ds_read_b64 v[8:9], v136
	ds_read_b64 v[78:79], v135 offset:1560
	s_waitcnt lgkmcnt(5)
	v_mov_b32_e32 v37, v29
	v_mov_b32_e32 v36, v28
	s_waitcnt lgkmcnt(4)
	v_mov_b32_e32 v39, v31
	v_mov_b32_e32 v38, v30
	;; [unrolled: 3-line block ×3, first 2 shown]
	v_mov_b32_e32 v65, v27
	v_mov_b32_e32 v64, v26
	;; [unrolled: 1-line block ×14, first 2 shown]
.LBB0_19:
	s_or_b64 exec, exec, s[8:9]
	v_add_u32_e32 v12, -13, v11
	v_cndmask_b32_e32 v137, v12, v11, vcc
	v_mul_lo_u32 v11, v137, v10
	v_mul_lo_u32 v42, v10, 13
	s_add_i32 s5, 0, 0x3a80
	v_and_b32_e32 v12, 63, v11
	v_add_u32_e32 v18, v11, v42
	v_add_u32_e32 v43, v18, v42
	v_lshrrev_b32_e32 v13, 3, v11
	v_lshrrev_b32_e32 v10, 9, v11
	v_and_b32_e32 v11, 63, v18
	v_lshrrev_b32_e32 v19, 3, v18
	v_lshrrev_b32_e32 v22, 9, v18
	v_and_b32_e32 v18, 63, v43
	v_lshl_add_u32 v27, v18, 3, 0
	v_lshrrev_b32_e32 v18, 3, v43
	v_lshrrev_b32_e32 v44, 9, v43
	v_add_u32_e32 v43, v43, v42
	v_lshrrev_b32_e32 v46, 3, v43
	v_and_b32_e32 v46, 0x1f8, v46
	v_add_u32_e32 v48, s5, v46
	v_lshrrev_b32_e32 v46, 9, v43
	v_and_b32_e32 v45, 63, v43
	v_and_b32_e32 v46, 0x1f8, v46
	v_add_u32_e32 v43, v43, v42
	v_add_u32_e32 v50, s5, v46
	v_and_b32_e32 v46, 63, v43
	v_lshl_add_u32 v51, v46, 3, 0
	v_lshrrev_b32_e32 v46, 3, v43
	v_and_b32_e32 v46, 0x1f8, v46
	v_add_u32_e32 v56, s5, v46
	v_lshrrev_b32_e32 v46, 9, v43
	v_and_b32_e32 v46, 0x1f8, v46
	v_add_u32_e32 v43, v43, v42
	v_add_u32_e32 v58, s5, v46
	v_and_b32_e32 v46, 63, v43
	v_lshl_add_u32 v59, v46, 3, 0
	v_lshrrev_b32_e32 v46, 3, v43
	v_and_b32_e32 v46, 0x1f8, v46
	v_add_u32_e32 v62, s5, v46
	v_lshrrev_b32_e32 v46, 9, v43
	;; [unrolled: 9-line block ×10, first 2 shown]
	v_and_b32_e32 v46, 0x1f8, v46
	v_add_u32_e32 v43, v43, v42
	v_add_u32_e32 v116, s5, v46
	v_and_b32_e32 v46, 63, v43
	v_lshl_add_u32 v117, v46, 3, 0
	v_lshrrev_b32_e32 v46, 3, v43
	v_and_b32_e32 v46, 0x1f8, v46
	v_add_u32_e32 v42, v43, v42
	v_add_u32_e32 v120, s5, v46
	v_lshrrev_b32_e32 v46, 9, v43
	v_and_b32_e32 v43, 63, v42
	v_lshl_add_u32 v123, v43, 3, 0
	v_lshrrev_b32_e32 v43, 3, v42
	v_and_b32_e32 v13, 0x1f8, v13
	v_and_b32_e32 v10, 0x1f8, v10
	;; [unrolled: 1-line block ×8, first 2 shown]
	v_lshrrev_b32_e32 v42, 9, v42
	v_lshl_add_u32 v12, v12, 3, 0
	v_add_u32_e32 v14, s5, v13
	v_add_u32_e32 v10, s5, v10
	v_lshl_add_u32 v16, v11, 3, 0
	v_add_u32_e32 v19, s5, v19
	v_add_u32_e32 v26, s5, v22
	;; [unrolled: 1-line block ×4, first 2 shown]
	v_lshl_add_u32 v45, v45, 3, 0
	v_add_u32_e32 v122, s5, v46
	v_add_u32_e32 v126, s5, v43
	v_and_b32_e32 v42, 0x1f8, v42
	ds_read_b64 v[12:13], v12 offset:14976
	ds_read_b64 v[14:15], v14 offset:512
	ds_read_b64 v[10:11], v10 offset:1024
	ds_read_b64 v[16:17], v16 offset:14976
	ds_read_b64 v[22:23], v19 offset:512
	ds_read_b64 v[18:19], v26 offset:1024
	ds_read_b64 v[26:27], v27 offset:14976
	ds_read_b64 v[28:29], v28 offset:512
	v_add_u32_e32 v138, s5, v42
	ds_read_b64 v[42:43], v44 offset:1024
	ds_read_b64 v[46:47], v45 offset:14976
	;; [unrolled: 1-line block ×40, first 2 shown]
	s_waitcnt lgkmcnt(0)
	s_barrier
	s_and_saveexec_b64 s[8:9], vcc
	s_cbranch_execz .LBB0_21
; %bb.20:
	v_mul_i32_i24_e32 v137, 15, v137
	v_mov_b32_e32 v138, 0
	v_lshlrev_b64 v[137:138], 3, v[137:138]
	v_mov_b32_e32 v139, s29
	v_add_co_u32_e32 v161, vcc, s28, v137
	v_addc_co_u32_e32 v162, vcc, v139, v138, vcc
	global_load_dwordx4 v[137:140], v[161:162], off offset:16
	global_load_dwordx4 v[141:144], v[161:162], off offset:80
	;; [unrolled: 1-line block ×3, first 2 shown]
	global_load_dwordx2 v[165:166], v[161:162], off offset:112
	global_load_dwordx4 v[149:152], v[161:162], off
	global_load_dwordx4 v[153:156], v[161:162], off offset:64
	global_load_dwordx4 v[157:160], v[161:162], off offset:32
	s_nop 0
	global_load_dwordx4 v[161:164], v[161:162], off offset:96
	s_waitcnt vmcnt(7)
	v_mul_f32_e32 v179, v31, v140
	s_waitcnt vmcnt(6)
	v_mul_f32_e32 v180, v3, v144
	;; [unrolled: 2-line block ×3, first 2 shown]
	v_mul_f32_e32 v146, v65, v146
	s_waitcnt vmcnt(3)
	v_mul_f32_e32 v171, v1, v150
	s_waitcnt vmcnt(2)
	v_mul_f32_e32 v172, v39, v154
	v_mul_f32_e32 v150, v0, v150
	;; [unrolled: 1-line block ×6, first 2 shown]
	v_fmac_f32_e32 v169, v65, v145
	v_fma_f32 v65, v0, v149, -v171
	v_fma_f32 v0, v38, v153, -v172
	v_fmac_f32_e32 v152, v21, v151
	v_fmac_f32_e32 v156, v33, v155
	v_fma_f32 v21, v30, v139, -v179
	v_sub_f32_e32 v33, v65, v0
	v_fma_f32 v0, v2, v143, -v180
	v_fmac_f32_e32 v150, v1, v149
	v_sub_f32_e32 v149, v21, v0
	v_mul_f32_e32 v0, v36, v148
	v_fmac_f32_e32 v0, v37, v147
	v_mul_f32_e32 v37, v37, v148
	v_mul_f32_e32 v30, v30, v140
	;; [unrolled: 1-line block ×4, first 2 shown]
	s_waitcnt vmcnt(1)
	v_mul_f32_e32 v173, v40, v158
	s_waitcnt vmcnt(0)
	v_mul_f32_e32 v174, v4, v162
	v_mul_f32_e32 v142, v24, v142
	;; [unrolled: 1-line block ×9, first 2 shown]
	v_fma_f32 v36, v36, v147, -v37
	v_fmac_f32_e32 v30, v31, v139
	v_fmac_f32_e32 v2, v3, v143
	v_mul_f32_e32 v167, v35, v138
	v_mul_f32_e32 v170, v78, v166
	;; [unrolled: 1-line block ×4, first 2 shown]
	v_fmac_f32_e32 v173, v41, v157
	v_fmac_f32_e32 v174, v5, v161
	;; [unrolled: 1-line block ×3, first 2 shown]
	v_fma_f32 v25, v40, v157, -v158
	v_fma_f32 v4, v4, v161, -v162
	v_fmac_f32_e32 v154, v39, v153
	v_fma_f32 v20, v20, v151, -v175
	v_fma_f32 v1, v32, v155, -v176
	v_fmac_f32_e32 v177, v53, v159
	v_fmac_f32_e32 v178, v7, v163
	v_fma_f32 v7, v52, v159, -v160
	v_fma_f32 v6, v6, v163, -v164
	v_sub_f32_e32 v151, v9, v0
	v_sub_f32_e32 v36, v8, v36
	;; [unrolled: 1-line block ×3, first 2 shown]
	v_fma_f32 v34, v34, v137, -v167
	v_fma_f32 v24, v24, v141, -v168
	v_fmac_f32_e32 v170, v79, v165
	v_fma_f32 v5, v64, v145, -v146
	v_fma_f32 v38, v78, v165, -v166
	v_fmac_f32_e32 v138, v35, v137
	v_sub_f32_e32 v35, v173, v174
	v_sub_f32_e32 v4, v25, v4
	;; [unrolled: 1-line block ×7, first 2 shown]
	v_add_f32_e32 v153, v151, v149
	v_sub_f32_e32 v31, v36, v2
	v_sub_f32_e32 v24, v34, v24
	;; [unrolled: 1-line block ×6, first 2 shown]
	v_add_f32_e32 v137, v40, v4
	v_sub_f32_e32 v141, v41, v52
	v_add_f32_e32 v142, v53, v6
	v_mov_b32_e32 v154, v153
	v_mov_b32_e32 v37, v31
	v_sub_f32_e32 v64, v24, v32
	v_add_f32_e32 v79, v39, v38
	v_mov_b32_e32 v145, v78
	v_mov_b32_e32 v146, v137
	v_fmac_f32_e32 v154, 0x3f3504f3, v142
	v_mul_f32_e32 v1, v124, v127
	v_fmac_f32_e32 v37, 0x3f3504f3, v141
	v_fmac_f32_e32 v145, 0x3f3504f3, v64
	;; [unrolled: 1-line block ×4, first 2 shown]
	v_mul_f32_e32 v0, v125, v127
	v_fmac_f32_e32 v1, v125, v126
	v_fmac_f32_e32 v37, 0xbf3504f3, v142
	;; [unrolled: 1-line block ×4, first 2 shown]
	v_mov_b32_e32 v155, v154
	v_fma_f32 v0, v124, v126, -v0
	v_mul_f32_e32 v124, v1, v123
	v_mov_b32_e32 v125, v37
	v_fmac_f32_e32 v155, 0x3f6c835e, v146
	v_fma_f32 v124, v122, v0, -v124
	v_fmac_f32_e32 v125, 0x3f6c835e, v145
	v_mul_f32_e32 v0, v0, v123
	v_fma_f32 v65, v65, 2.0, -v33
	v_fma_f32 v3, v25, 2.0, -v4
	v_fmac_f32_e32 v155, 0x3ec3ef15, v145
	v_fmac_f32_e32 v125, 0xbec3ef15, v146
	;; [unrolled: 1-line block ×3, first 2 shown]
	v_sub_f32_e32 v25, v65, v3
	v_fma_f32 v122, v138, 2.0, -v39
	v_fma_f32 v3, v169, 2.0, -v32
	v_mul_f32_e32 v1, v125, v0
	v_mul_f32_e32 v0, v155, v0
	v_sub_f32_e32 v32, v122, v3
	v_fma_f32 v34, v34, 2.0, -v24
	v_fma_f32 v3, v5, 2.0, -v38
	v_fmac_f32_e32 v1, v155, v124
	v_fma_f32 v0, v125, v124, -v0
	v_sub_f32_e32 v38, v34, v3
	v_fma_f32 v124, v150, 2.0, -v40
	v_fma_f32 v3, v173, 2.0, -v35
	;; [unrolled: 1-line block ×4, first 2 shown]
	v_sub_f32_e32 v35, v124, v3
	v_fma_f32 v3, v7, 2.0, -v6
	v_fma_f32 v7, v9, 2.0, -v151
	;; [unrolled: 1-line block ×3, first 2 shown]
	v_sub_f32_e32 v21, v8, v5
	v_fma_f32 v9, v152, 2.0, -v53
	v_fma_f32 v5, v177, 2.0, -v52
	;; [unrolled: 1-line block ×3, first 2 shown]
	v_sub_f32_e32 v30, v7, v2
	v_sub_f32_e32 v52, v9, v5
	v_add_f32_e32 v126, v35, v38
	v_sub_f32_e32 v6, v20, v3
	v_mul_f32_e32 v2, v119, v121
	v_mul_f32_e32 v3, v118, v121
	v_fma_f32 v34, v34, 2.0, -v38
	v_fma_f32 v38, v7, 2.0, -v30
	;; [unrolled: 1-line block ×3, first 2 shown]
	v_mul_f32_e32 v9, v106, v109
	v_add_f32_e32 v127, v30, v6
	v_fma_f32 v2, v118, v120, -v2
	v_fmac_f32_e32 v3, v119, v120
	v_sub_f32_e32 v118, v21, v52
	v_sub_f32_e32 v52, v38, v7
	v_mul_f32_e32 v7, v107, v109
	v_fmac_f32_e32 v9, v107, v108
	v_fma_f32 v107, v8, 2.0, -v21
	v_fma_f32 v6, v20, 2.0, -v6
	v_sub_f32_e32 v123, v25, v32
	v_mov_b32_e32 v138, v127
	v_mul_f32_e32 v4, v3, v117
	v_mov_b32_e32 v119, v118
	v_fma_f32 v7, v106, v108, -v7
	v_sub_f32_e32 v108, v107, v6
	v_fma_f32 v109, v124, 2.0, -v35
	v_fma_f32 v6, v122, 2.0, -v32
	v_mul_f32_e32 v20, v101, v103
	v_fmac_f32_e32 v138, 0x3f3504f3, v126
	v_fma_f32 v4, v116, v2, -v4
	v_fmac_f32_e32 v119, 0x3f3504f3, v123
	v_mul_f32_e32 v2, v2, v117
	v_fma_f32 v33, v33, 2.0, -v78
	v_mul_f32_e32 v106, v9, v105
	v_sub_f32_e32 v32, v109, v6
	v_mul_f32_e32 v6, v7, v105
	v_fma_f32 v8, v78, 2.0, -v145
	v_fma_f32 v78, v153, 2.0, -v154
	v_fma_f32 v20, v100, v102, -v20
	v_mul_f32_e32 v100, v100, v103
	v_fmac_f32_e32 v138, 0x3f3504f3, v123
	v_fmac_f32_e32 v119, 0xbf3504f3, v126
	;; [unrolled: 1-line block ×3, first 2 shown]
	v_fma_f32 v5, v39, 2.0, -v79
	v_fma_f32 v39, v40, 2.0, -v137
	v_fma_f32 v106, v104, v7, -v106
	v_fmac_f32_e32 v6, v104, v9
	v_fma_f32 v9, v137, 2.0, -v146
	v_mov_b32_e32 v104, v78
	v_fmac_f32_e32 v100, v101, v102
	v_fma_f32 v102, v31, 2.0, -v37
	v_mul_f32_e32 v3, v119, v2
	v_mul_f32_e32 v2, v138, v2
	v_mov_b32_e32 v40, v39
	v_fmac_f32_e32 v104, 0xbec3ef15, v9
	v_mov_b32_e32 v103, v102
	v_fmac_f32_e32 v3, v138, v4
	v_fma_f32 v2, v119, v4, -v2
	v_fma_f32 v4, v24, 2.0, -v64
	v_mov_b32_e32 v24, v33
	v_fmac_f32_e32 v40, 0xbf3504f3, v5
	v_fmac_f32_e32 v104, 0x3f6c835e, v8
	v_mul_f32_e32 v101, v100, v99
	v_fmac_f32_e32 v103, 0xbec3ef15, v8
	v_mul_f32_e32 v8, v20, v99
	v_fmac_f32_e32 v24, 0xbf3504f3, v4
	v_fmac_f32_e32 v40, 0x3f3504f3, v4
	v_fma_f32 v4, v41, 2.0, -v141
	v_fma_f32 v41, v151, 2.0, -v153
	v_mul_f32_e32 v79, v113, v115
	v_fma_f32 v101, v98, v20, -v101
	v_fmac_f32_e32 v8, v98, v100
	v_fma_f32 v98, v30, 2.0, -v127
	v_mul_f32_e32 v30, v95, v97
	v_fmac_f32_e32 v24, 0xbf3504f3, v5
	v_fma_f32 v5, v53, 2.0, -v142
	v_mov_b32_e32 v53, v41
	v_fma_f32 v79, v112, v114, -v79
	v_mul_f32_e32 v112, v112, v115
	v_fma_f32 v36, v36, 2.0, -v31
	v_fma_f32 v65, v65, 2.0, -v25
	;; [unrolled: 1-line block ×4, first 2 shown]
	v_mov_b32_e32 v99, v98
	v_fma_f32 v30, v94, v96, -v30
	v_mul_f32_e32 v31, v94, v97
	v_fma_f32 v94, v21, 2.0, -v118
	v_fmac_f32_e32 v53, 0xbf3504f3, v5
	v_fmac_f32_e32 v112, v113, v114
	v_mov_b32_e32 v114, v36
	v_fmac_f32_e32 v99, 0xbf3504f3, v25
	v_fmac_f32_e32 v31, v95, v96
	v_mov_b32_e32 v95, v94
	v_fmac_f32_e32 v53, 0x3f3504f3, v4
	v_fmac_f32_e32 v114, 0xbf3504f3, v4
	;; [unrolled: 1-line block ×3, first 2 shown]
	v_mul_f32_e32 v35, v31, v93
	v_fmac_f32_e32 v95, 0xbf3504f3, v20
	v_mul_f32_e32 v20, v30, v93
	v_mov_b32_e32 v64, v53
	v_fmac_f32_e32 v114, 0xbf3504f3, v5
	v_fma_f32 v35, v92, v30, -v35
	v_fmac_f32_e32 v20, v92, v31
	v_fma_f32 v92, v41, 2.0, -v53
	v_mul_f32_e32 v30, v89, v91
	v_fmac_f32_e32 v64, 0x3ec3ef15, v40
	v_mov_b32_e32 v115, v114
	v_fmac_f32_e32 v95, 0xbf3504f3, v25
	v_fma_f32 v25, v39, 2.0, -v40
	v_mov_b32_e32 v93, v92
	v_fma_f32 v30, v88, v90, -v30
	v_mul_f32_e32 v31, v88, v91
	v_fma_f32 v88, v36, 2.0, -v114
	v_fmac_f32_e32 v64, 0x3f6c835e, v24
	v_fmac_f32_e32 v115, 0x3ec3ef15, v24
	v_fma_f32 v24, v33, 2.0, -v24
	v_fmac_f32_e32 v93, 0xbf6c835e, v25
	v_fmac_f32_e32 v31, v89, v90
	v_mov_b32_e32 v89, v88
	v_fmac_f32_e32 v93, 0x3ec3ef15, v24
	v_mul_f32_e32 v33, v31, v87
	v_fmac_f32_e32 v89, 0xbf6c835e, v24
	v_mul_f32_e32 v24, v30, v87
	v_fma_f32 v33, v86, v30, -v33
	v_fmac_f32_e32 v89, 0xbec3ef15, v25
	v_fmac_f32_e32 v24, v86, v31
	v_fma_f32 v86, v38, 2.0, -v52
	v_fma_f32 v30, v109, 2.0, -v32
	v_sub_f32_e32 v34, v65, v34
	v_mul_f32_e32 v25, v89, v24
	v_mul_f32_e32 v24, v93, v24
	v_sub_f32_e32 v87, v86, v30
	v_mul_f32_e32 v30, v83, v85
	v_mul_f32_e32 v31, v82, v85
	v_mul_f32_e32 v113, v112, v111
	v_mul_f32_e32 v4, v79, v111
	v_fmac_f32_e32 v25, v93, v33
	v_fma_f32 v24, v89, v33, -v24
	v_fma_f32 v30, v82, v84, -v30
	v_fmac_f32_e32 v31, v83, v84
	v_fma_f32 v82, v107, 2.0, -v108
	v_fma_f32 v33, v65, 2.0, -v34
	v_fma_f32 v113, v110, v79, -v113
	v_fmac_f32_e32 v4, v110, v112
	v_sub_f32_e32 v110, v108, v32
	v_mul_f32_e32 v32, v31, v81
	v_sub_f32_e32 v65, v82, v33
	v_mul_f32_e32 v33, v75, v77
	v_add_f32_e32 v79, v52, v34
	v_fma_f32 v32, v80, v30, -v32
	v_mul_f32_e32 v30, v30, v81
	v_fma_f32 v33, v74, v76, -v33
	v_mul_f32_e32 v34, v74, v77
	v_mul_f32_e32 v21, v95, v20
	;; [unrolled: 1-line block ×3, first 2 shown]
	v_fmac_f32_e32 v30, v80, v31
	v_fmac_f32_e32 v34, v75, v76
	v_fma_f32 v36, v37, 2.0, -v125
	v_mul_f32_e32 v37, v33, v73
	v_fmac_f32_e32 v21, v99, v35
	v_fma_f32 v20, v95, v35, -v20
	v_mul_f32_e32 v31, v65, v30
	v_mul_f32_e32 v30, v87, v30
	;; [unrolled: 1-line block ×3, first 2 shown]
	v_fmac_f32_e32 v37, v72, v34
	v_fmac_f32_e32 v31, v87, v32
	v_fma_f32 v30, v65, v32, -v30
	v_fma_f32 v32, v154, 2.0, -v155
	v_fma_f32 v35, v72, v33, -v35
	v_mul_f32_e32 v33, v36, v37
	v_fmac_f32_e32 v33, v32, v35
	v_mul_f32_e32 v32, v32, v37
	v_fma_f32 v32, v36, v35, -v32
	v_mul_f32_e32 v35, v69, v71
	v_fma_f32 v35, v68, v70, -v35
	v_mul_f32_e32 v36, v68, v71
	v_fmac_f32_e32 v36, v69, v70
	v_mul_f32_e32 v39, v35, v67
	v_mul_f32_e32 v37, v36, v67
	v_fma_f32 v38, v118, 2.0, -v119
	v_fmac_f32_e32 v39, v66, v36
	v_fma_f32 v34, v127, 2.0, -v138
	v_fma_f32 v37, v66, v35, -v37
	v_mul_f32_e32 v35, v38, v39
	v_fmac_f32_e32 v35, v34, v37
	v_mul_f32_e32 v34, v34, v39
	v_fma_f32 v34, v38, v37, -v34
	v_mul_f32_e32 v37, v61, v63
	v_fma_f32 v37, v60, v62, -v37
	v_mul_f32_e32 v38, v60, v63
	v_fmac_f32_e32 v115, 0xbf6c835e, v40
	v_fmac_f32_e32 v38, v61, v62
	v_mul_f32_e32 v41, v37, v59
	v_mul_f32_e32 v39, v38, v59
	v_fma_f32 v40, v114, 2.0, -v115
	v_fmac_f32_e32 v41, v58, v38
	v_fma_f32 v36, v53, 2.0, -v64
	v_fma_f32 v39, v58, v37, -v39
	v_mul_f32_e32 v37, v40, v41
	v_fmac_f32_e32 v37, v36, v39
	v_mul_f32_e32 v36, v36, v41
	v_fma_f32 v36, v40, v39, -v36
	v_mul_f32_e32 v39, v55, v57
	v_mul_f32_e32 v40, v54, v57
	v_fma_f32 v39, v54, v56, -v39
	v_fmac_f32_e32 v40, v55, v56
	v_mul_f32_e32 v41, v40, v51
	v_mul_f32_e32 v51, v39, v51
	v_fma_f32 v38, v52, 2.0, -v79
	v_fma_f32 v52, v108, 2.0, -v110
	v_fmac_f32_e32 v51, v50, v40
	v_fma_f32 v41, v50, v39, -v41
	v_mul_f32_e32 v39, v52, v51
	v_fmac_f32_e32 v39, v38, v41
	v_mul_f32_e32 v38, v38, v51
	v_fma_f32 v38, v52, v41, -v38
	v_mul_f32_e32 v41, v47, v49
	v_fma_f32 v41, v46, v48, -v41
	v_mul_f32_e32 v46, v46, v49
	v_fmac_f32_e32 v46, v47, v48
	v_fmac_f32_e32 v103, 0xbf6c835e, v9
	v_mul_f32_e32 v47, v46, v45
	v_mul_f32_e32 v45, v41, v45
	v_fma_f32 v48, v102, 2.0, -v103
	v_fmac_f32_e32 v45, v44, v46
	v_fma_f32 v40, v78, 2.0, -v104
	v_fma_f32 v47, v44, v41, -v47
	v_mul_f32_e32 v41, v48, v45
	v_fmac_f32_e32 v41, v40, v47
	v_mul_f32_e32 v40, v40, v45
	v_mul_f32_e32 v45, v27, v29
	v_fma_f32 v45, v26, v28, -v45
	v_mul_f32_e32 v26, v26, v29
	v_fmac_f32_e32 v26, v27, v28
	v_mul_f32_e32 v27, v26, v43
	v_mul_f32_e32 v43, v45, v43
	v_fma_f32 v44, v98, 2.0, -v99
	v_fma_f32 v29, v94, 2.0, -v95
	v_fmac_f32_e32 v43, v42, v26
	v_fma_f32 v28, v42, v45, -v27
	v_mul_f32_e32 v27, v29, v43
	v_mul_f32_e32 v26, v44, v43
	v_fmac_f32_e32 v27, v44, v28
	v_fma_f32 v26, v29, v28, -v26
	v_mul_f32_e32 v28, v17, v23
	v_fma_f32 v28, v16, v22, -v28
	v_mul_f32_e32 v16, v16, v23
	v_fmac_f32_e32 v16, v17, v22
	v_mul_f32_e32 v17, v16, v19
	v_mul_f32_e32 v19, v28, v19
	v_fma_f32 v23, v92, 2.0, -v93
	v_fmac_f32_e32 v19, v18, v16
	v_fma_f32 v16, v88, 2.0, -v89
	v_fma_f32 v22, v18, v28, -v17
	v_mul_f32_e32 v17, v16, v19
	v_mul_f32_e32 v18, v23, v19
	v_mul_f32_e32 v19, v13, v15
	v_fma_f32 v19, v12, v14, -v19
	v_mul_f32_e32 v12, v12, v15
	v_fmac_f32_e32 v12, v13, v14
	v_mul_f32_e32 v15, v19, v11
	v_fma_f32 v16, v16, v22, -v18
	v_fma_f32 v18, v86, 2.0, -v87
	v_mul_f32_e32 v13, v12, v11
	v_fma_f32 v14, v82, 2.0, -v65
	v_fmac_f32_e32 v15, v10, v12
	v_fma_f32 v13, v10, v19, -v13
	v_mul_f32_e32 v11, v15, v14
	v_mul_f32_e32 v10, v15, v18
	;; [unrolled: 1-line block ×8, first 2 shown]
	v_fmac_f32_e32 v11, v13, v18
	v_fma_f32 v10, v13, v14, -v10
	v_fmac_f32_e32 v5, v64, v113
	v_fma_f32 v4, v115, v113, -v4
	;; [unrolled: 2-line block ×4, first 2 shown]
	v_fma_f32 v40, v48, v47, -v40
	v_fmac_f32_e32 v17, v23, v22
	ds_write_b64 v136, v[10:11]
	ds_write2_b64 v135, v[16:17], v[26:27] offset0:13 offset1:26
	ds_write2_b64 v135, v[40:41], v[38:39] offset0:39 offset1:52
	;; [unrolled: 1-line block ×7, first 2 shown]
	ds_write_b64 v135, v[0:1] offset:1560
.LBB0_21:
	s_or_b64 exec, exec, s[8:9]
	s_waitcnt lgkmcnt(0)
	s_barrier
	s_and_saveexec_b64 s[8:9], s[0:1]
	s_cbranch_execz .LBB0_23
; %bb.22:
	v_mad_u64_u32 v[4:5], s[0:1], s22, v133, 0
	v_mad_u64_u32 v[6:7], s[8:9], s20, v128, 0
	v_mov_b32_e32 v0, v5
	v_mad_u64_u32 v[0:1], s[8:9], s23, v133, v[0:1]
	v_mov_b32_e32 v1, v7
	s_mul_i32 s5, s7, s4
	s_mul_hi_u32 s7, s6, s4
	v_mad_u64_u32 v[1:2], s[8:9], s21, v128, v[1:2]
	s_movk_i32 s0, 0x680
	s_add_i32 s1, s7, s5
	v_mul_lo_u32 v2, v133, s0
	s_mul_i32 s0, s6, s4
	s_lshl_b64 s[0:1], s[0:1], 3
	s_add_u32 s4, s18, s0
	v_mov_b32_e32 v5, v0
	s_addc_u32 s5, s19, s1
	s_lshl_b64 s[0:1], s[2:3], 3
	s_add_u32 s0, s4, s0
	v_lshlrev_b64 v[4:5], 3, v[4:5]
	s_addc_u32 s1, s5, s1
	v_mov_b32_e32 v7, v1
	v_mov_b32_e32 v8, s1
	v_add_co_u32_e32 v11, vcc, s0, v4
	v_addc_co_u32_e32 v12, vcc, v8, v5, vcc
	v_lshlrev_b64 v[4:5], 3, v[6:7]
	v_mad_u64_u32 v[6:7], s[0:1], s20, v132, 0
	v_add3_u32 v10, 0, v2, v134
	ds_read2_b64 v[0:3], v10 offset1:16
	v_mad_u64_u32 v[7:8], s[0:1], s21, v132, v[7:8]
	v_mad_u64_u32 v[8:9], s[0:1], s20, v131, 0
	v_add_co_u32_e32 v4, vcc, v11, v4
	v_addc_co_u32_e32 v5, vcc, v12, v5, vcc
	s_waitcnt lgkmcnt(0)
	global_store_dwordx2 v[4:5], v[0:1], off
	v_mov_b32_e32 v4, v9
	v_mad_u64_u32 v[4:5], s[0:1], s21, v131, v[4:5]
	v_lshlrev_b64 v[0:1], 3, v[6:7]
	v_mad_u64_u32 v[6:7], s[0:1], s20, v130, 0
	v_add_co_u32_e32 v0, vcc, v11, v0
	v_addc_co_u32_e32 v1, vcc, v12, v1, vcc
	v_mov_b32_e32 v9, v4
	global_store_dwordx2 v[0:1], v[2:3], off
	ds_read2_b64 v[0:3], v10 offset0:32 offset1:48
	v_lshlrev_b64 v[4:5], 3, v[8:9]
	v_mad_u64_u32 v[7:8], s[0:1], s21, v130, v[7:8]
	v_mad_u64_u32 v[8:9], s[0:1], s20, v129, 0
	v_add_co_u32_e32 v4, vcc, v11, v4
	v_addc_co_u32_e32 v5, vcc, v12, v5, vcc
	s_waitcnt lgkmcnt(0)
	global_store_dwordx2 v[4:5], v[0:1], off
	v_mov_b32_e32 v4, v9
	v_mad_u64_u32 v[4:5], s[0:1], s21, v129, v[4:5]
	v_lshlrev_b64 v[0:1], 3, v[6:7]
	v_or_b32_e32 v13, 0x60, v128
	v_mov_b32_e32 v9, v4
	v_lshlrev_b64 v[4:5], 3, v[8:9]
	v_add_u32_e32 v8, 0x50, v128
	v_mad_u64_u32 v[6:7], s[0:1], s20, v8, 0
	v_add_co_u32_e32 v0, vcc, v11, v0
	v_addc_co_u32_e32 v1, vcc, v12, v1, vcc
	global_store_dwordx2 v[0:1], v[2:3], off
	ds_read2_b64 v[0:3], v10 offset0:64 offset1:80
	v_mad_u64_u32 v[7:8], s[0:1], s21, v8, v[7:8]
	v_mad_u64_u32 v[8:9], s[0:1], s20, v13, 0
	v_add_co_u32_e32 v4, vcc, v11, v4
	v_addc_co_u32_e32 v5, vcc, v12, v5, vcc
	s_waitcnt lgkmcnt(0)
	global_store_dwordx2 v[4:5], v[0:1], off
	v_mov_b32_e32 v4, v9
	v_mad_u64_u32 v[4:5], s[0:1], s21, v13, v[4:5]
	v_lshlrev_b64 v[0:1], 3, v[6:7]
	v_or_b32_e32 v13, 0x80, v128
	v_mov_b32_e32 v9, v4
	v_lshlrev_b64 v[4:5], 3, v[8:9]
	v_add_u32_e32 v8, 0x70, v128
	v_mad_u64_u32 v[6:7], s[0:1], s20, v8, 0
	v_add_co_u32_e32 v0, vcc, v11, v0
	v_addc_co_u32_e32 v1, vcc, v12, v1, vcc
	global_store_dwordx2 v[0:1], v[2:3], off
	ds_read2_b64 v[0:3], v10 offset0:96 offset1:112
	;; [unrolled: 18-line block ×4, first 2 shown]
	v_mad_u64_u32 v[7:8], s[0:1], s21, v8, v[7:8]
	v_mad_u64_u32 v[8:9], s[0:1], s20, v13, 0
	v_add_co_u32_e32 v4, vcc, v11, v4
	v_addc_co_u32_e32 v5, vcc, v12, v5, vcc
	s_waitcnt lgkmcnt(0)
	global_store_dwordx2 v[4:5], v[0:1], off
	v_mov_b32_e32 v4, v9
	v_lshlrev_b64 v[0:1], 3, v[6:7]
	v_mad_u64_u32 v[4:5], s[0:1], s21, v13, v[4:5]
	v_add_co_u32_e32 v0, vcc, v11, v0
	v_addc_co_u32_e32 v1, vcc, v12, v1, vcc
	global_store_dwordx2 v[0:1], v[2:3], off
	v_mov_b32_e32 v9, v4
	ds_read_b64 v[0:1], v10 offset:1536
	v_lshlrev_b64 v[2:3], 3, v[8:9]
	v_add_co_u32_e32 v2, vcc, v11, v2
	v_addc_co_u32_e32 v3, vcc, v12, v3, vcc
	s_waitcnt lgkmcnt(0)
	global_store_dwordx2 v[2:3], v[0:1], off
.LBB0_23:
	s_endpgm
	.section	.rodata,"a",@progbits
	.p2align	6, 0x0
	.amdhsa_kernel fft_rtc_fwd_len208_factors_13_16_wgs_144_tpt_16_sp_op_CI_CI_sbcc_twdbase6_3step
		.amdhsa_group_segment_fixed_size 0
		.amdhsa_private_segment_fixed_size 0
		.amdhsa_kernarg_size 112
		.amdhsa_user_sgpr_count 6
		.amdhsa_user_sgpr_private_segment_buffer 1
		.amdhsa_user_sgpr_dispatch_ptr 0
		.amdhsa_user_sgpr_queue_ptr 0
		.amdhsa_user_sgpr_kernarg_segment_ptr 1
		.amdhsa_user_sgpr_dispatch_id 0
		.amdhsa_user_sgpr_flat_scratch_init 0
		.amdhsa_user_sgpr_private_segment_size 0
		.amdhsa_uses_dynamic_stack 0
		.amdhsa_system_sgpr_private_segment_wavefront_offset 0
		.amdhsa_system_sgpr_workgroup_id_x 1
		.amdhsa_system_sgpr_workgroup_id_y 0
		.amdhsa_system_sgpr_workgroup_id_z 0
		.amdhsa_system_sgpr_workgroup_info 0
		.amdhsa_system_vgpr_workitem_id 0
		.amdhsa_next_free_vgpr 181
		.amdhsa_next_free_sgpr 55
		.amdhsa_reserve_vcc 1
		.amdhsa_reserve_flat_scratch 0
		.amdhsa_float_round_mode_32 0
		.amdhsa_float_round_mode_16_64 0
		.amdhsa_float_denorm_mode_32 3
		.amdhsa_float_denorm_mode_16_64 3
		.amdhsa_dx10_clamp 1
		.amdhsa_ieee_mode 1
		.amdhsa_fp16_overflow 0
		.amdhsa_exception_fp_ieee_invalid_op 0
		.amdhsa_exception_fp_denorm_src 0
		.amdhsa_exception_fp_ieee_div_zero 0
		.amdhsa_exception_fp_ieee_overflow 0
		.amdhsa_exception_fp_ieee_underflow 0
		.amdhsa_exception_fp_ieee_inexact 0
		.amdhsa_exception_int_div_zero 0
	.end_amdhsa_kernel
	.text
.Lfunc_end0:
	.size	fft_rtc_fwd_len208_factors_13_16_wgs_144_tpt_16_sp_op_CI_CI_sbcc_twdbase6_3step, .Lfunc_end0-fft_rtc_fwd_len208_factors_13_16_wgs_144_tpt_16_sp_op_CI_CI_sbcc_twdbase6_3step
                                        ; -- End function
	.section	.AMDGPU.csdata,"",@progbits
; Kernel info:
; codeLenInByte = 10644
; NumSgprs: 59
; NumVgprs: 181
; ScratchSize: 0
; MemoryBound: 0
; FloatMode: 240
; IeeeMode: 1
; LDSByteSize: 0 bytes/workgroup (compile time only)
; SGPRBlocks: 7
; VGPRBlocks: 45
; NumSGPRsForWavesPerEU: 59
; NumVGPRsForWavesPerEU: 181
; Occupancy: 1
; WaveLimiterHint : 1
; COMPUTE_PGM_RSRC2:SCRATCH_EN: 0
; COMPUTE_PGM_RSRC2:USER_SGPR: 6
; COMPUTE_PGM_RSRC2:TRAP_HANDLER: 0
; COMPUTE_PGM_RSRC2:TGID_X_EN: 1
; COMPUTE_PGM_RSRC2:TGID_Y_EN: 0
; COMPUTE_PGM_RSRC2:TGID_Z_EN: 0
; COMPUTE_PGM_RSRC2:TIDIG_COMP_CNT: 0
	.type	__hip_cuid_22a2ddab39df4e69,@object ; @__hip_cuid_22a2ddab39df4e69
	.section	.bss,"aw",@nobits
	.globl	__hip_cuid_22a2ddab39df4e69
__hip_cuid_22a2ddab39df4e69:
	.byte	0                               ; 0x0
	.size	__hip_cuid_22a2ddab39df4e69, 1

	.ident	"AMD clang version 19.0.0git (https://github.com/RadeonOpenCompute/llvm-project roc-6.4.0 25133 c7fe45cf4b819c5991fe208aaa96edf142730f1d)"
	.section	".note.GNU-stack","",@progbits
	.addrsig
	.addrsig_sym __hip_cuid_22a2ddab39df4e69
	.amdgpu_metadata
---
amdhsa.kernels:
  - .args:
      - .actual_access:  read_only
        .address_space:  global
        .offset:         0
        .size:           8
        .value_kind:     global_buffer
      - .address_space:  global
        .offset:         8
        .size:           8
        .value_kind:     global_buffer
      - .offset:         16
        .size:           8
        .value_kind:     by_value
      - .actual_access:  read_only
        .address_space:  global
        .offset:         24
        .size:           8
        .value_kind:     global_buffer
      - .actual_access:  read_only
        .address_space:  global
        .offset:         32
        .size:           8
        .value_kind:     global_buffer
      - .actual_access:  read_only
        .address_space:  global
        .offset:         40
        .size:           8
        .value_kind:     global_buffer
      - .offset:         48
        .size:           8
        .value_kind:     by_value
      - .actual_access:  read_only
        .address_space:  global
        .offset:         56
        .size:           8
        .value_kind:     global_buffer
      - .actual_access:  read_only
        .address_space:  global
        .offset:         64
        .size:           8
        .value_kind:     global_buffer
      - .offset:         72
        .size:           4
        .value_kind:     by_value
      - .actual_access:  read_only
        .address_space:  global
        .offset:         80
        .size:           8
        .value_kind:     global_buffer
      - .actual_access:  read_only
        .address_space:  global
        .offset:         88
        .size:           8
        .value_kind:     global_buffer
      - .actual_access:  read_only
        .address_space:  global
        .offset:         96
        .size:           8
        .value_kind:     global_buffer
      - .actual_access:  write_only
        .address_space:  global
        .offset:         104
        .size:           8
        .value_kind:     global_buffer
    .group_segment_fixed_size: 0
    .kernarg_segment_align: 8
    .kernarg_segment_size: 112
    .language:       OpenCL C
    .language_version:
      - 2
      - 0
    .max_flat_workgroup_size: 144
    .name:           fft_rtc_fwd_len208_factors_13_16_wgs_144_tpt_16_sp_op_CI_CI_sbcc_twdbase6_3step
    .private_segment_fixed_size: 0
    .sgpr_count:     59
    .sgpr_spill_count: 0
    .symbol:         fft_rtc_fwd_len208_factors_13_16_wgs_144_tpt_16_sp_op_CI_CI_sbcc_twdbase6_3step.kd
    .uniform_work_group_size: 1
    .uses_dynamic_stack: false
    .vgpr_count:     181
    .vgpr_spill_count: 0
    .wavefront_size: 64
amdhsa.target:   amdgcn-amd-amdhsa--gfx906
amdhsa.version:
  - 1
  - 2
...

	.end_amdgpu_metadata
